;; amdgpu-corpus repo=ROCm/MIOpen kind=compiled arch=gfx1100 opt=O3
	.text
	.amdgcn_target "amdgcn-amd-amdhsa--gfx1100"
	.amdhsa_code_object_version 6
	.protected	gridwise_generic_reduce_1_prepare ; -- Begin function gridwise_generic_reduce_1_prepare
	.globl	gridwise_generic_reduce_1_prepare
	.p2align	8
	.type	gridwise_generic_reduce_1_prepare,@function
gridwise_generic_reduce_1_prepare:      ; @gridwise_generic_reduce_1_prepare
; %bb.0:
	s_mov_b32 s2, exec_lo
	v_cmpx_eq_u32_e32 0, v0
	s_cbranch_execz .LBB0_2
; %bb.1:
	s_clause 0x3
	s_load_b128 s[4:7], s[0:1], 0x8
	s_load_b64 s[12:13], s[0:1], 0x38
	s_load_b128 s[8:11], s[0:1], 0x20
	s_load_b64 s[14:15], s[0:1], 0x50
	s_waitcnt lgkmcnt(0)
	s_add_i32 s16, s4, -1
	s_add_i32 s17, s5, -1
	s_mov_b32 s2, s5
	s_add_i32 s19, s6, -1
	s_mov_b32 s0, s4
	s_mov_b32 s1, s5
	s_mul_i32 s21, s16, s12
	s_mul_i32 s22, s17, s13
	;; [unrolled: 1-line block ×4, first 2 shown]
	v_dual_mov_b32 v18, s2 :: v_dual_mov_b32 v3, s7
	v_dual_mov_b32 v22, 0 :: v_dual_mov_b32 v17, s1
	s_add_i32 s20, s7, -1
	s_mul_i32 s19, s19, s10
	v_mov_b32_e32 v16, s0
	s_add_i32 s0, s16, s17
	s_mul_i32 s20, s20, s11
	s_add_i32 s0, s0, s19
	s_mul_i32 s3, s5, s4
	s_mul_i32 s18, s7, s6
	s_add_i32 s0, s0, s20
	v_mov_b32_e32 v4, s4
	v_dual_mov_b32 v2, s7 :: v_dual_mov_b32 v1, s6
	s_mul_i32 s23, s18, s3
	v_dual_mov_b32 v0, s3 :: v_dual_mov_b32 v7, s7
	s_add_i32 s0, s0, 1
	v_dual_mov_b32 v5, s5 :: v_dual_mov_b32 v6, s6
	v_dual_mov_b32 v8, s8 :: v_dual_mov_b32 v19, s18
	s_mov_b32 s7, s13
	s_add_i32 s1, s21, s22
	v_dual_mov_b32 v9, s9 :: v_dual_mov_b32 v10, s10
	v_mov_b32_e32 v21, s0
	v_mov_b32_e32 v11, s11
	s_mov_b32 s6, s12
	v_dual_mov_b32 v20, s23 :: v_dual_mov_b32 v15, s7
	s_add_i32 s1, s1, 1
	v_dual_mov_b32 v14, s6 :: v_dual_mov_b32 v13, s5
	v_mov_b32_e32 v12, s4
	s_clause 0x1
	global_store_b96 v22, v[16:18], s[14:15] offset:32
	global_store_b128 v22, v[0:3], s[14:15] offset:48
	v_dual_mov_b32 v1, s3 :: v_dual_mov_b32 v2, s1
	s_clause 0x5
	global_store_b128 v22, v[4:7], s[14:15]
	global_store_b128 v22, v[8:11], s[14:15] offset:16
	global_store_b96 v22, v[19:21], s[14:15] offset:68
	global_store_b128 v22, v[12:15], s[14:15] offset:2048
	global_store_b96 v22, v[16:18], s[14:15] offset:2064
	global_store_b96 v22, v[0:2], s[14:15] offset:2080
.LBB0_2:
	s_nop 0
	s_sendmsg sendmsg(MSG_DEALLOC_VGPRS)
	s_endpgm
	.section	.rodata,"a",@progbits
	.p2align	6, 0x0
	.amdhsa_kernel gridwise_generic_reduce_1_prepare
		.amdhsa_group_segment_fixed_size 0
		.amdhsa_private_segment_fixed_size 0
		.amdhsa_kernarg_size 88
		.amdhsa_user_sgpr_count 15
		.amdhsa_user_sgpr_dispatch_ptr 0
		.amdhsa_user_sgpr_queue_ptr 0
		.amdhsa_user_sgpr_kernarg_segment_ptr 1
		.amdhsa_user_sgpr_dispatch_id 0
		.amdhsa_user_sgpr_private_segment_size 0
		.amdhsa_wavefront_size32 1
		.amdhsa_uses_dynamic_stack 0
		.amdhsa_enable_private_segment 0
		.amdhsa_system_sgpr_workgroup_id_x 1
		.amdhsa_system_sgpr_workgroup_id_y 0
		.amdhsa_system_sgpr_workgroup_id_z 0
		.amdhsa_system_sgpr_workgroup_info 0
		.amdhsa_system_vgpr_workitem_id 0
		.amdhsa_next_free_vgpr 23
		.amdhsa_next_free_sgpr 24
		.amdhsa_reserve_vcc 0
		.amdhsa_float_round_mode_32 0
		.amdhsa_float_round_mode_16_64 0
		.amdhsa_float_denorm_mode_32 3
		.amdhsa_float_denorm_mode_16_64 3
		.amdhsa_dx10_clamp 1
		.amdhsa_ieee_mode 1
		.amdhsa_fp16_overflow 0
		.amdhsa_workgroup_processor_mode 1
		.amdhsa_memory_ordered 1
		.amdhsa_forward_progress 0
		.amdhsa_shared_vgpr_count 0
		.amdhsa_exception_fp_ieee_invalid_op 0
		.amdhsa_exception_fp_denorm_src 0
		.amdhsa_exception_fp_ieee_div_zero 0
		.amdhsa_exception_fp_ieee_overflow 0
		.amdhsa_exception_fp_ieee_underflow 0
		.amdhsa_exception_fp_ieee_inexact 0
		.amdhsa_exception_int_div_zero 0
	.end_amdhsa_kernel
	.text
.Lfunc_end0:
	.size	gridwise_generic_reduce_1_prepare, .Lfunc_end0-gridwise_generic_reduce_1_prepare
                                        ; -- End function
	.section	.AMDGPU.csdata,"",@progbits
; Kernel info:
; codeLenInByte = 332
; NumSgprs: 24
; NumVgprs: 23
; ScratchSize: 0
; MemoryBound: 0
; FloatMode: 240
; IeeeMode: 1
; LDSByteSize: 0 bytes/workgroup (compile time only)
; SGPRBlocks: 2
; VGPRBlocks: 2
; NumSGPRsForWavesPerEU: 24
; NumVGPRsForWavesPerEU: 23
; Occupancy: 16
; WaveLimiterHint : 1
; COMPUTE_PGM_RSRC2:SCRATCH_EN: 0
; COMPUTE_PGM_RSRC2:USER_SGPR: 15
; COMPUTE_PGM_RSRC2:TRAP_HANDLER: 0
; COMPUTE_PGM_RSRC2:TGID_X_EN: 1
; COMPUTE_PGM_RSRC2:TGID_Y_EN: 0
; COMPUTE_PGM_RSRC2:TGID_Z_EN: 0
; COMPUTE_PGM_RSRC2:TIDIG_COMP_CNT: 0
	.text
	.protected	gridwise_generic_reduce_1 ; -- Begin function gridwise_generic_reduce_1
	.globl	gridwise_generic_reduce_1
	.p2align	8
	.type	gridwise_generic_reduce_1,@function
gridwise_generic_reduce_1:              ; @gridwise_generic_reduce_1
; %bb.0:
	s_load_b128 s[4:7], s[0:1], 0x20
	v_lshl_add_u32 v1, s15, 8, v0
	s_waitcnt lgkmcnt(0)
	s_clause 0x3
	s_load_b32 s21, s[6:7], 0x44
	s_load_b64 s[16:17], s[6:7], 0x808
	s_load_b32 s20, s[6:7], 0x818
	s_load_b32 s3, s[6:7], 0x828
	v_ashrrev_i32_e32 v0, 31, v1
	s_delay_alu instid0(VALU_DEP_1) | instskip(NEXT) | instid1(VALU_DEP_1)
	v_lshrrev_b32_e32 v0, 27, v0
	v_add_nc_u32_e32 v0, v1, v0
	s_delay_alu instid0(VALU_DEP_1) | instskip(SKIP_3) | instid1(VALU_DEP_2)
	v_and_b32_e32 v2, 0xffffffe0, v0
	v_ashrrev_i32_e32 v0, 5, v0
	s_waitcnt lgkmcnt(0)
	s_cmp_lt_i32 s21, 1
	v_sub_nc_u32_e32 v2, v1, v2
	s_delay_alu instid0(VALU_DEP_2)
	v_sub_nc_u32_e32 v1, 0, v0
	s_cbranch_scc1 .LBB1_3
; %bb.1:
	s_clause 0x1
	s_load_b32 s12, s[6:7], 0x28
	s_load_b64 s[18:19], s[6:7], 0x38
	v_lshlrev_b32_e32 v6, 1, v2
	s_load_b32 s2, s[6:7], 0x4c
	v_max_i32_e32 v7, v0, v1
	v_bfe_i32 v8, v2, 30, 1
	s_waitcnt lgkmcnt(0)
	s_abs_i32 s13, s12
	s_abs_i32 s15, s19
	v_cvt_f32_u32_e32 v3, s13
	v_cvt_f32_u32_e32 v4, s15
	s_sub_i32 s8, 0, s13
	s_sub_i32 s9, 0, s15
	s_ashr_i32 s25, s19, 31
	v_rcp_iflag_f32_e32 v3, v3
	v_rcp_iflag_f32_e32 v4, v4
	v_xor_b32_e32 v9, s12, v0
	v_xor_b32_e32 v8, s25, v8
	s_delay_alu instid0(VALU_DEP_2) | instskip(SKIP_2) | instid1(VALU_DEP_1)
	v_ashrrev_i32_e32 v9, 31, v9
	s_waitcnt_depctr 0xfff
	v_dual_mul_f32 v3, 0x4f7ffffe, v3 :: v_dual_mul_f32 v4, 0x4f7ffffe, v4
	v_cvt_u32_f32_e32 v3, v3
	s_delay_alu instid0(VALU_DEP_2) | instskip(NEXT) | instid1(VALU_DEP_2)
	v_cvt_u32_f32_e32 v4, v4
	v_mul_lo_u32 v5, s8, v3
	s_delay_alu instid0(VALU_DEP_2) | instskip(SKIP_1) | instid1(VALU_DEP_2)
	v_readfirstlane_b32 s8, v4
	v_sub_nc_u32_e32 v4, 0, v6
	s_mul_i32 s9, s9, s8
	s_delay_alu instid0(VALU_DEP_1) | instskip(NEXT) | instid1(VALU_DEP_4)
	v_max_i32_e32 v4, v6, v4
	v_mul_hi_u32 v5, v3, v5
	s_mul_hi_u32 s9, s8, s9
	s_delay_alu instid0(SALU_CYCLE_1) | instskip(SKIP_4) | instid1(VALU_DEP_1)
	s_add_i32 s22, s8, s9
	s_load_b128 s[8:11], s[6:7], 0x10
	s_lshl_b32 s14, s2, 2
	s_add_i32 s2, s19, 1
	s_mul_hi_u32 s26, s22, 63
	v_add_nc_u32_e32 v3, v3, v5
	v_mul_hi_u32 v5, v4, s22
	s_cmp_lt_u32 s2, 3
	s_mul_i32 s7, s26, s15
	s_cselect_b32 s6, s19, 0
	s_sub_i32 s28, 63, s7
	s_mul_i32 s22, s6, s19
	s_add_i32 s27, s26, 1
	s_add_i32 s7, s22, -1
	v_mul_lo_u32 v10, v5, s15
	s_sub_i32 s22, 1, s22
	s_delay_alu instid0(SALU_CYCLE_1) | instskip(SKIP_2) | instid1(VALU_DEP_1)
	s_sub_i32 s23, s18, s22
	s_add_i32 s24, s22, s18
	s_sub_i32 s29, 0, s23
	v_sub_nc_u32_e32 v4, v4, v10
	v_add_nc_u32_e32 v10, 1, v5
	s_delay_alu instid0(VALU_DEP_2) | instskip(SKIP_1) | instid1(VALU_DEP_2)
	v_subrev_nc_u32_e32 v12, s15, v4
	v_cmp_le_u32_e32 vcc_lo, s15, v4
	v_cndmask_b32_e32 v4, v4, v12, vcc_lo
	v_mul_hi_u32 v3, v7, v3
	s_delay_alu instid0(VALU_DEP_1) | instskip(NEXT) | instid1(VALU_DEP_1)
	v_mul_lo_u32 v11, v3, s13
	v_sub_nc_u32_e32 v7, v7, v11
	v_add_nc_u32_e32 v11, 1, v3
	s_delay_alu instid0(VALU_DEP_2) | instskip(NEXT) | instid1(VALU_DEP_1)
	v_cmp_le_u32_e64 s2, s13, v7
	v_cndmask_b32_e64 v3, v3, v11, s2
	v_cndmask_b32_e32 v5, v5, v10, vcc_lo
	v_subrev_nc_u32_e32 v10, s13, v7
	v_cmp_le_u32_e32 vcc_lo, s15, v4
	s_delay_alu instid0(VALU_DEP_2)
	v_cndmask_b32_e64 v7, v7, v10, s2
	v_add_nc_u32_e32 v10, 1, v3
	v_add_nc_u32_e32 v11, 1, v5
	s_sub_i32 s2, s28, s15
	s_cmp_ge_u32 s28, s15
	s_cselect_b32 s26, s27, s26
	s_delay_alu instid0(VALU_DEP_1)
	v_cndmask_b32_e32 v4, v5, v11, vcc_lo
	v_cmp_le_u32_e32 vcc_lo, s13, v7
	s_cselect_b32 s2, s2, s28
	s_add_i32 s27, s26, 1
	s_cmp_ge_u32 s2, s15
	v_cndmask_b32_e32 v3, v3, v10, vcc_lo
	v_xor_b32_e32 v4, v4, v8
	s_cselect_b32 s2, s27, s26
	s_delay_alu instid0(SALU_CYCLE_1) | instskip(NEXT) | instid1(VALU_DEP_2)
	s_xor_b32 s2, s2, s25
	v_xor_b32_e32 v3, v3, v9
	s_delay_alu instid0(VALU_DEP_2) | instskip(SKIP_1) | instid1(SALU_CYCLE_1)
	v_sub_nc_u32_e32 v4, v4, v8
	s_sub_i32 s25, s2, s25
	s_mul_i32 s2, s25, s19
	s_delay_alu instid0(VALU_DEP_2) | instskip(NEXT) | instid1(VALU_DEP_2)
	v_sub_nc_u32_e32 v3, v3, v9
	v_mul_lo_u32 v5, v4, s19
	s_sub_i32 s26, s2, 63
	s_delay_alu instid0(VALU_DEP_2) | instskip(SKIP_4) | instid1(VALU_DEP_3)
	v_mul_lo_u32 v8, v3, s12
	s_waitcnt lgkmcnt(0)
	v_mul_lo_u32 v3, v3, s8
	s_load_b64 s[12:13], s[0:1], 0x10
	s_mov_b32 s8, 0
	v_sub_nc_u32_e32 v7, v6, v5
	s_delay_alu instid0(VALU_DEP_3) | instskip(NEXT) | instid1(VALU_DEP_3)
	v_sub_nc_u32_e32 v5, v0, v8
	v_mad_u64_u32 v[8:9], null, v4, s10, v[3:4]
	s_delay_alu instid0(VALU_DEP_3) | instskip(SKIP_1) | instid1(VALU_DEP_4)
	v_mul_lo_u32 v6, v7, s11
	v_mov_b32_e32 v3, 0
	v_mul_lo_u32 v9, v5, s9
	s_sub_i32 s9, 63, s2
	v_mbcnt_lo_u32_b32 v4, -1, 0
	s_sub_i32 s19, s18, s9
	v_mov_b32_e32 v5, s29
	s_sub_i32 s15, 0, s19
	s_add_i32 s18, s9, s18
	s_delay_alu instid0(VALU_DEP_3)
	v_add3_u32 v8, v8, v9, v6
	v_mov_b32_e32 v6, s15
	s_mov_b32 s15, 0x20000
.LBB1_2:                                ; =>This Inner Loop Header: Depth=1
	v_cmp_le_i32_e32 vcc_lo, s23, v7
	v_cmp_gt_i32_e64 s2, s7, v7
	s_add_i32 s8, s8, 64
	v_mov_b32_e32 v18, 1
	s_cmp_ge_i32 s8, s21
	v_cndmask_b32_e64 v10, 0, 1, vcc_lo
	v_dual_cndmask_b32 v9, s22, v5 :: v_dual_lshlrev_b32 v12, 2, v8
	v_cmp_gt_u32_e32 vcc_lo, 16, v4
	v_mov_b32_e32 v14, 1
	s_delay_alu instid0(VALU_DEP_4) | instskip(NEXT) | instid1(VALU_DEP_4)
	v_cndmask_b32_e64 v10, v10, -1, s2
	v_cndmask_b32_e64 v9, v9, s24, s2
	v_mov_b32_e32 v15, 1
	v_mov_b32_e32 v17, 1
	s_delay_alu instid0(VALU_DEP_4) | instskip(NEXT) | instid1(VALU_DEP_4)
	v_dual_mov_b32 v19, 1 :: v_dual_add_nc_u32 v10, s6, v10
	v_mul_lo_u32 v11, v9, s11
	v_add_nc_u32_e32 v7, v9, v7
	v_mov_b32_e32 v9, 1
	s_delay_alu instid0(VALU_DEP_4) | instskip(NEXT) | instid1(VALU_DEP_3)
	v_mul_lo_u32 v10, v10, s10
	v_cmp_gt_i32_e64 s2, s26, v7
	s_delay_alu instid0(VALU_DEP_2)
	v_add3_u32 v8, v11, v8, v10
	s_waitcnt lgkmcnt(0)
	buffer_load_b32 v10, v12, s[12:15], 0 offen
	v_lshlrev_b32_e32 v11, 2, v8
	buffer_load_b32 v11, v11, s[12:15], 0 offen
	v_cndmask_b32_e64 v12, 0, 1, vcc_lo
	v_cmp_gt_u32_e32 vcc_lo, 24, v4
	;;#ASMSTART
	;;#ASMEND
	;;#ASMSTART
	;;#ASMEND
	;; [unrolled: 2-line block ×3, first 2 shown]
	v_lshlrev_b32_e32 v12, 4, v12
	s_delay_alu instid0(VALU_DEP_1) | instskip(SKIP_3) | instid1(VALU_DEP_1)
	v_add_lshl_u32 v12, v12, v4, 2
	s_waitcnt vmcnt(1)
	v_add_f32_e32 v10, 0, v10
	s_waitcnt vmcnt(0)
	v_add_f32_e32 v10, v10, v11
	ds_bpermute_b32 v11, v12, v10
	v_cndmask_b32_e64 v12, 0, 1, vcc_lo
	v_cmp_gt_u32_e32 vcc_lo, 28, v4
	s_delay_alu instid0(VALU_DEP_2) | instskip(NEXT) | instid1(VALU_DEP_1)
	v_lshlrev_b32_e32 v12, 3, v12
	v_add_lshl_u32 v12, v12, v4, 2
	s_waitcnt lgkmcnt(0)
	v_add_f32_e32 v10, v10, v11
	ds_bpermute_b32 v11, v12, v10
	v_cndmask_b32_e64 v12, 0, 1, vcc_lo
	v_cmp_gt_u32_e32 vcc_lo, 30, v4
	s_delay_alu instid0(VALU_DEP_2) | instskip(NEXT) | instid1(VALU_DEP_1)
	v_lshlrev_b32_e32 v12, 2, v12
	v_add_lshl_u32 v12, v12, v4, 2
	s_waitcnt lgkmcnt(0)
	v_add_f32_e32 v10, v10, v11
	ds_bpermute_b32 v11, v12, v10
	v_cndmask_b32_e64 v12, 0, 1, vcc_lo
	v_cmp_ne_u32_e32 vcc_lo, 31, v4
	s_delay_alu instid0(VALU_DEP_2) | instskip(NEXT) | instid1(VALU_DEP_1)
	v_lshlrev_b32_e32 v12, 1, v12
	v_add_lshl_u32 v12, v12, v4, 2
	s_waitcnt lgkmcnt(0)
	v_add_f32_e32 v10, v10, v11
	ds_bpermute_b32 v11, v12, v10
	v_add_co_ci_u32_e32 v12, vcc_lo, 0, v4, vcc_lo
	v_cmp_le_i32_e32 vcc_lo, s19, v7
	s_delay_alu instid0(VALU_DEP_2) | instskip(SKIP_1) | instid1(VALU_DEP_1)
	v_lshlrev_b32_e32 v12, 2, v12
	v_cndmask_b32_e64 v13, 0, 1, vcc_lo
	v_cndmask_b32_e64 v13, v13, -1, s2
	s_waitcnt lgkmcnt(0)
	s_delay_alu instid0(VALU_DEP_1) | instskip(SKIP_1) | instid1(VALU_DEP_2)
	v_dual_add_f32 v10, v10, v11 :: v_dual_add_nc_u32 v13, s25, v13
	v_cndmask_b32_e32 v11, s9, v6, vcc_lo
	v_mul_lo_u32 v13, v13, s10
	ds_bpermute_b32 v12, v12, v10
	v_cndmask_b32_e64 v11, v11, s18, s2
	s_delay_alu instid0(VALU_DEP_1)
	v_dual_mov_b32 v16, 1 :: v_dual_add_nc_u32 v7, v11, v7
	v_mul_lo_u32 v20, v11, s11
	;;#ASMSTART
	;;#ASMEND
	;;#ASMSTART
	;;#ASMEND
	;;#ASMSTART
	;;#ASMEND
	;;#ASMSTART
	;;#ASMEND
	s_delay_alu instid0(VALU_DEP_1) | instskip(SKIP_2) | instid1(VALU_DEP_1)
	v_add3_u32 v8, v20, v8, v13
	s_waitcnt lgkmcnt(0)
	v_add_f32_e32 v10, v10, v12
	v_add_f32_e32 v3, v3, v10
	s_cbranch_scc0 .LBB1_2
	s_branch .LBB1_4
.LBB1_3:
	v_mov_b32_e32 v3, 0
.LBB1_4:
	s_mov_b32 s2, exec_lo
	v_cmpx_eq_u32_e32 0, v2
	s_cbranch_execz .LBB1_8
; %bb.5:
	s_abs_i32 s2, s20
	v_max_i32_e32 v1, v0, v1
	v_cvt_f32_u32_e32 v2, s2
	s_sub_i32 s6, 0, s2
	s_mov_b32 s7, 0x20000
	s_delay_alu instid0(VALU_DEP_1) | instskip(SKIP_2) | instid1(VALU_DEP_1)
	v_rcp_iflag_f32_e32 v2, v2
	s_waitcnt_depctr 0xfff
	v_mul_f32_e32 v2, 0x4f7ffffe, v2
	v_cvt_u32_f32_e32 v2, v2
	s_delay_alu instid0(VALU_DEP_1) | instskip(SKIP_1) | instid1(VALU_DEP_1)
	v_mul_lo_u32 v4, s6, v2
	s_lshl_b32 s6, s3, 2
	v_mul_hi_u32 v4, v2, v4
	s_delay_alu instid0(VALU_DEP_1) | instskip(NEXT) | instid1(VALU_DEP_1)
	v_add_nc_u32_e32 v2, v2, v4
	v_mul_hi_u32 v2, v1, v2
	s_delay_alu instid0(VALU_DEP_1) | instskip(NEXT) | instid1(VALU_DEP_1)
	v_mul_lo_u32 v4, v2, s2
	v_sub_nc_u32_e32 v1, v1, v4
	v_add_nc_u32_e32 v4, 1, v2
	s_delay_alu instid0(VALU_DEP_2) | instskip(SKIP_1) | instid1(VALU_DEP_2)
	v_subrev_nc_u32_e32 v5, s2, v1
	v_cmp_le_u32_e32 vcc_lo, s2, v1
	v_dual_cndmask_b32 v2, v2, v4 :: v_dual_cndmask_b32 v1, v1, v5
	v_xor_b32_e32 v4, s20, v0
	s_delay_alu instid0(VALU_DEP_2)
	v_cmp_le_u32_e32 vcc_lo, s2, v1
	s_clause 0x1
	s_load_b32 s2, s[0:1], 0x8
	s_load_b32 s0, s[0:1], 0x18
	v_add_nc_u32_e32 v5, 1, v2
	v_ashrrev_i32_e32 v4, 31, v4
	s_delay_alu instid0(VALU_DEP_2) | instskip(NEXT) | instid1(VALU_DEP_1)
	v_cndmask_b32_e32 v1, v2, v5, vcc_lo
	v_xor_b32_e32 v1, v1, v4
	s_delay_alu instid0(VALU_DEP_1) | instskip(SKIP_3) | instid1(VALU_DEP_3)
	v_sub_nc_u32_e32 v1, v1, v4
	s_waitcnt lgkmcnt(0)
	v_cmp_eq_f32_e64 vcc_lo, s2, 1.0
	v_cmp_eq_f32_e64 s1, s0, 0
	v_mul_lo_u32 v2, v1, s20
	v_mul_lo_u32 v1, v1, s16
	s_delay_alu instid0(VALU_DEP_2) | instskip(NEXT) | instid1(VALU_DEP_1)
	v_sub_nc_u32_e32 v0, v0, v2
	v_mul_lo_u32 v2, v0, s17
	v_mul_f32_e32 v0, s2, v3
	s_delay_alu instid0(VALU_DEP_1) | instskip(SKIP_1) | instid1(VALU_DEP_3)
	v_cndmask_b32_e32 v0, v0, v3, vcc_lo
	s_and_b32 vcc_lo, exec_lo, s1
	v_add_lshl_u32 v1, v2, v1, 2
	s_cbranch_vccnz .LBB1_7
; %bb.6:
	buffer_load_b32 v2, v1, s[4:7], 0 offen
	s_waitcnt vmcnt(0)
	v_fmac_f32_e32 v0, s0, v2
.LBB1_7:
	buffer_store_b32 v0, v1, s[4:7], 0 offen
.LBB1_8:
	s_nop 0
	s_sendmsg sendmsg(MSG_DEALLOC_VGPRS)
	s_endpgm
	.section	.rodata,"a",@progbits
	.p2align	6, 0x0
	.amdhsa_kernel gridwise_generic_reduce_1
		.amdhsa_group_segment_fixed_size 0
		.amdhsa_private_segment_fixed_size 0
		.amdhsa_kernarg_size 64
		.amdhsa_user_sgpr_count 15
		.amdhsa_user_sgpr_dispatch_ptr 0
		.amdhsa_user_sgpr_queue_ptr 0
		.amdhsa_user_sgpr_kernarg_segment_ptr 1
		.amdhsa_user_sgpr_dispatch_id 0
		.amdhsa_user_sgpr_private_segment_size 0
		.amdhsa_wavefront_size32 1
		.amdhsa_uses_dynamic_stack 0
		.amdhsa_enable_private_segment 0
		.amdhsa_system_sgpr_workgroup_id_x 1
		.amdhsa_system_sgpr_workgroup_id_y 0
		.amdhsa_system_sgpr_workgroup_id_z 0
		.amdhsa_system_sgpr_workgroup_info 0
		.amdhsa_system_vgpr_workitem_id 0
		.amdhsa_next_free_vgpr 21
		.amdhsa_next_free_sgpr 30
		.amdhsa_reserve_vcc 1
		.amdhsa_float_round_mode_32 0
		.amdhsa_float_round_mode_16_64 0
		.amdhsa_float_denorm_mode_32 3
		.amdhsa_float_denorm_mode_16_64 3
		.amdhsa_dx10_clamp 1
		.amdhsa_ieee_mode 1
		.amdhsa_fp16_overflow 0
		.amdhsa_workgroup_processor_mode 1
		.amdhsa_memory_ordered 1
		.amdhsa_forward_progress 0
		.amdhsa_shared_vgpr_count 0
		.amdhsa_exception_fp_ieee_invalid_op 0
		.amdhsa_exception_fp_denorm_src 0
		.amdhsa_exception_fp_ieee_div_zero 0
		.amdhsa_exception_fp_ieee_overflow 0
		.amdhsa_exception_fp_ieee_underflow 0
		.amdhsa_exception_fp_ieee_inexact 0
		.amdhsa_exception_int_div_zero 0
	.end_amdhsa_kernel
	.text
.Lfunc_end1:
	.size	gridwise_generic_reduce_1, .Lfunc_end1-gridwise_generic_reduce_1
                                        ; -- End function
	.section	.AMDGPU.csdata,"",@progbits
; Kernel info:
; codeLenInByte = 1504
; NumSgprs: 32
; NumVgprs: 21
; ScratchSize: 0
; MemoryBound: 0
; FloatMode: 240
; IeeeMode: 1
; LDSByteSize: 0 bytes/workgroup (compile time only)
; SGPRBlocks: 3
; VGPRBlocks: 2
; NumSGPRsForWavesPerEU: 32
; NumVGPRsForWavesPerEU: 21
; Occupancy: 16
; WaveLimiterHint : 1
; COMPUTE_PGM_RSRC2:SCRATCH_EN: 0
; COMPUTE_PGM_RSRC2:USER_SGPR: 15
; COMPUTE_PGM_RSRC2:TRAP_HANDLER: 0
; COMPUTE_PGM_RSRC2:TGID_X_EN: 1
; COMPUTE_PGM_RSRC2:TGID_Y_EN: 0
; COMPUTE_PGM_RSRC2:TGID_Z_EN: 0
; COMPUTE_PGM_RSRC2:TIDIG_COMP_CNT: 0
	.text
	.p2alignl 7, 3214868480
	.fill 96, 4, 3214868480
	.type	__hip_cuid_ce1cd3148c64b47a,@object ; @__hip_cuid_ce1cd3148c64b47a
	.section	.bss,"aw",@nobits
	.globl	__hip_cuid_ce1cd3148c64b47a
__hip_cuid_ce1cd3148c64b47a:
	.byte	0                               ; 0x0
	.size	__hip_cuid_ce1cd3148c64b47a, 1

	.ident	"AMD clang version 19.0.0git (https://github.com/RadeonOpenCompute/llvm-project roc-6.4.0 25133 c7fe45cf4b819c5991fe208aaa96edf142730f1d)"
	.section	".note.GNU-stack","",@progbits
	.addrsig
	.addrsig_sym __hip_cuid_ce1cd3148c64b47a
	.amdgpu_metadata
---
amdhsa.kernels:
  - .args:
      - .offset:         0
        .size:           4
        .value_kind:     by_value
      - .offset:         4
        .size:           4
        .value_kind:     by_value
      - .offset:         8
        .size:           4
        .value_kind:     by_value
      - .offset:         12
        .size:           4
        .value_kind:     by_value
      - .offset:         16
        .size:           4
        .value_kind:     by_value
      - .offset:         20
        .size:           4
        .value_kind:     by_value
      - .offset:         24
        .size:           4
        .value_kind:     by_value
      - .offset:         28
        .size:           4
        .value_kind:     by_value
      - .offset:         32
        .size:           4
        .value_kind:     by_value
      - .offset:         36
        .size:           4
        .value_kind:     by_value
      - .offset:         40
        .size:           4
        .value_kind:     by_value
      - .offset:         44
        .size:           4
        .value_kind:     by_value
      - .offset:         48
        .size:           4
        .value_kind:     by_value
      - .offset:         52
        .size:           4
        .value_kind:     by_value
      - .offset:         56
        .size:           4
        .value_kind:     by_value
      - .offset:         60
        .size:           4
        .value_kind:     by_value
      - .offset:         64
        .size:           4
        .value_kind:     by_value
      - .offset:         68
        .size:           4
        .value_kind:     by_value
      - .offset:         72
        .size:           4
        .value_kind:     by_value
      - .offset:         76
        .size:           4
        .value_kind:     by_value
      - .actual_access:  write_only
        .address_space:  global
        .offset:         80
        .size:           8
        .value_kind:     global_buffer
    .group_segment_fixed_size: 0
    .kernarg_segment_align: 8
    .kernarg_segment_size: 88
    .language:       OpenCL C
    .language_version:
      - 2
      - 0
    .max_flat_workgroup_size: 1024
    .name:           gridwise_generic_reduce_1_prepare
    .private_segment_fixed_size: 0
    .sgpr_count:     24
    .sgpr_spill_count: 0
    .symbol:         gridwise_generic_reduce_1_prepare.kd
    .uniform_work_group_size: 1
    .uses_dynamic_stack: false
    .vgpr_count:     23
    .vgpr_spill_count: 0
    .wavefront_size: 32
    .workgroup_processor_mode: 1
  - .args:
      - .offset:         0
        .size:           4
        .value_kind:     by_value
      - .offset:         4
        .size:           4
        .value_kind:     by_value
      - .offset:         8
        .size:           4
        .value_kind:     by_value
      - .address_space:  global
        .offset:         16
        .size:           8
        .value_kind:     global_buffer
      - .offset:         24
        .size:           4
        .value_kind:     by_value
      - .address_space:  global
        .offset:         32
        .size:           8
        .value_kind:     global_buffer
      - .address_space:  constant
        .offset:         40
        .size:           8
        .value_kind:     global_buffer
      - .offset:         48
        .size:           8
        .value_kind:     by_value
      - .actual_access:  read_only
        .address_space:  global
        .offset:         56
        .size:           8
        .value_kind:     global_buffer
    .group_segment_fixed_size: 0
    .kernarg_segment_align: 8
    .kernarg_segment_size: 64
    .language:       OpenCL C
    .language_version:
      - 2
      - 0
    .max_flat_workgroup_size: 1024
    .name:           gridwise_generic_reduce_1
    .private_segment_fixed_size: 0
    .sgpr_count:     32
    .sgpr_spill_count: 0
    .symbol:         gridwise_generic_reduce_1.kd
    .uniform_work_group_size: 1
    .uses_dynamic_stack: false
    .vgpr_count:     21
    .vgpr_spill_count: 0
    .wavefront_size: 32
    .workgroup_processor_mode: 1
amdhsa.target:   amdgcn-amd-amdhsa--gfx1100
amdhsa.version:
  - 1
  - 2
...

	.end_amdgpu_metadata
